;; amdgpu-corpus repo=ROCm/rocSPARSE kind=compiled arch=gfx1250 opt=O3
	.amdgcn_target "amdgcn-amd-amdhsa--gfx1250"
	.amdhsa_code_object_version 6
	.section	.text._ZN9rocsparseL13gemmit_kernelILj256EfEEviiNS_24const_host_device_scalarIT0_EEPKS2_iPKiS7_S5_S3_PS2_i21rocsparse_index_base_b,"axG",@progbits,_ZN9rocsparseL13gemmit_kernelILj256EfEEviiNS_24const_host_device_scalarIT0_EEPKS2_iPKiS7_S5_S3_PS2_i21rocsparse_index_base_b,comdat
	.globl	_ZN9rocsparseL13gemmit_kernelILj256EfEEviiNS_24const_host_device_scalarIT0_EEPKS2_iPKiS7_S5_S3_PS2_i21rocsparse_index_base_b ; -- Begin function _ZN9rocsparseL13gemmit_kernelILj256EfEEviiNS_24const_host_device_scalarIT0_EEPKS2_iPKiS7_S5_S3_PS2_i21rocsparse_index_base_b
	.p2align	8
	.type	_ZN9rocsparseL13gemmit_kernelILj256EfEEviiNS_24const_host_device_scalarIT0_EEPKS2_iPKiS7_S5_S3_PS2_i21rocsparse_index_base_b,@function
_ZN9rocsparseL13gemmit_kernelILj256EfEEviiNS_24const_host_device_scalarIT0_EEPKS2_iPKiS7_S5_S3_PS2_i21rocsparse_index_base_b: ; @_ZN9rocsparseL13gemmit_kernelILj256EfEEviiNS_24const_host_device_scalarIT0_EEPKS2_iPKiS7_S5_S3_PS2_i21rocsparse_index_base_b
; %bb.0:
	s_clause 0x2
	s_load_b96 s[8:10], s[0:1], 0x48
	s_load_b64 s[2:3], s[0:1], 0x8
	s_load_b64 s[12:13], s[0:1], 0x38
	s_wait_kmcnt 0x0
	s_bitcmp1_b32 s10, 0
	s_cselect_b32 s4, -1, 0
	s_delay_alu instid0(SALU_CYCLE_1)
	s_and_b32 vcc_lo, exec_lo, s4
	s_xor_b32 s4, s4, -1
	s_cbranch_vccnz .LBB0_2
; %bb.1:
	s_load_b32 s2, s[2:3], 0x0
.LBB0_2:
	s_and_not1_b32 vcc_lo, exec_lo, s4
	s_cbranch_vccnz .LBB0_4
; %bb.3:
	s_load_b32 s12, s[12:13], 0x0
.LBB0_4:
	s_nop 0
	s_load_b64 s[10:11], s[0:1], 0x0
	s_wait_xcnt 0x0
	s_bfe_u32 s3, ttmp6, 0x4000c
	s_and_b32 s4, ttmp6, 15
	s_add_co_i32 s3, s3, 1
	s_getreg_b32 s13, hwreg(HW_REG_IB_STS2, 6, 4)
	s_mul_i32 s3, ttmp9, s3
	s_delay_alu instid0(SALU_CYCLE_1) | instskip(SKIP_2) | instid1(SALU_CYCLE_1)
	s_add_co_i32 s4, s4, s3
	s_cmp_eq_u32 s13, 0
	s_cselect_b32 s3, ttmp9, s4
	v_lshl_or_b32 v0, s3, 8, v0
	s_mov_b32 s3, 0
	s_wait_kmcnt 0x0
	s_delay_alu instid0(VALU_DEP_1) | instskip(SKIP_2) | instid1(SALU_CYCLE_1)
	v_cmp_gt_i32_e32 vcc_lo, s10, v0
	s_cmp_gt_i32 s11, 0
	s_cselect_b32 s4, -1, 0
	s_and_b32 s4, vcc_lo, s4
	s_delay_alu instid0(SALU_CYCLE_1)
	s_and_saveexec_b32 s5, s4
	s_cbranch_execz .LBB0_15
; %bb.5:
	s_clause 0x3
	s_load_b96 s[20:22], s[0:1], 0x10
	s_load_b64 s[18:19], s[0:1], 0x40
	s_load_b64 s[14:15], s[0:1], 0x30
	s_load_b128 s[4:7], s[0:1], 0x20
	v_ashrrev_i32_e32 v1, 31, v0
	s_wait_xcnt 0x0
	s_bfe_u32 s0, ttmp6, 0x40010
	s_bfe_u32 s10, ttmp6, 0x40004
	s_add_co_i32 s0, s0, 1
	s_ashr_i32 s1, s8, 31
	v_lshlrev_b64_e32 v[2:3], 2, v[0:1]
	s_mul_i32 s0, ttmp7, s0
	s_delay_alu instid0(SALU_CYCLE_1)
	s_add_co_i32 s10, s10, s0
	s_mov_b32 s0, s8
	s_wait_kmcnt 0x0
	s_ashr_i32 s17, s22, 31
	s_cmp_eq_u32 s13, 0
	v_add_nc_u64_e32 v[0:1], s[20:21], v[2:3]
	v_add_nc_u64_e32 v[2:3], s[18:19], v[2:3]
	s_cselect_b32 s10, ttmp7, s10
	s_cmp_eq_f32 s12, 0
	s_mov_b32 s16, s22
	s_cselect_b32 s8, -1, 0
	s_branch .LBB0_7
.LBB0_6:                                ;   in Loop: Header=BB0_7 Depth=1
	s_add_co_i32 s3, s3, 0xffff
	s_delay_alu instid0(SALU_CYCLE_1)
	s_cmp_lt_i32 s3, s11
	s_cbranch_scc0 .LBB0_15
.LBB0_7:                                ; =>This Loop Header: Depth=1
                                        ;     Child Loop BB0_10 Depth 2
	s_add_co_i32 s18, s3, s10
	s_delay_alu instid0(SALU_CYCLE_1)
	s_cmp_ge_i32 s18, s11
	s_cbranch_scc1 .LBB0_6
; %bb.8:                                ;   in Loop: Header=BB0_7 Depth=1
	s_ashr_i32 s19, s18, 31
	s_wait_xcnt 0x0
	v_mov_b32_e32 v4, 0
	s_lshl_b64 s[20:21], s[18:19], 2
	s_delay_alu instid0(SALU_CYCLE_1)
	s_add_nc_u64 s[20:21], s[4:5], s[20:21]
	s_load_b64 s[22:23], s[20:21], 0x0
	s_wait_kmcnt 0x0
	s_cmp_ge_i32 s22, s23
	s_cbranch_scc1 .LBB0_11
; %bb.9:                                ;   in Loop: Header=BB0_7 Depth=1
	s_wait_xcnt 0x0
	s_sub_co_i32 s20, s22, s9
	v_mov_b32_e32 v4, 0
	s_ashr_i32 s21, s20, 31
	s_sub_co_i32 s13, s23, s9
	s_lshl_b64 s[24:25], s[20:21], 2
	s_delay_alu instid0(SALU_CYCLE_1)
	s_add_nc_u64 s[22:23], s[6:7], s[24:25]
	s_add_nc_u64 s[24:25], s[14:15], s[24:25]
.LBB0_10:                               ;   Parent Loop BB0_7 Depth=1
                                        ; =>  This Inner Loop Header: Depth=2
	s_load_b32 s21, s[22:23], 0x0
	s_add_co_i32 s20, s20, 1
	s_wait_xcnt 0x0
	s_add_nc_u64 s[22:23], s[22:23], 4
	s_wait_kmcnt 0x0
	s_sub_co_i32 s26, s21, s9
	s_load_b32 s21, s[24:25], 0x0
	s_ashr_i32 s27, s26, 31
	s_cmp_ge_i32 s20, s13
	s_mul_u64 s[26:27], s[26:27], s[16:17]
	s_wait_xcnt 0x0
	s_add_nc_u64 s[24:25], s[24:25], 4
	v_lshl_add_u64 v[6:7], s[26:27], 2, v[0:1]
	global_load_b32 v5, v[6:7], off
	s_wait_loadcnt 0x0
	s_wait_kmcnt 0x0
	v_fmac_f32_e32 v4, s21, v5
	s_cbranch_scc0 .LBB0_10
.LBB0_11:                               ;   in Loop: Header=BB0_7 Depth=1
	s_mul_u64 s[18:19], s[18:19], s[0:1]
	s_wait_xcnt 0x0
	s_delay_alu instid0(VALU_DEP_1)
	v_mul_f32_e32 v6, s2, v4
	v_lshl_add_u64 v[4:5], s[18:19], 2, v[2:3]
	s_and_b32 vcc_lo, exec_lo, s8
	s_cbranch_vccz .LBB0_13
; %bb.12:                               ;   in Loop: Header=BB0_7 Depth=1
	global_store_b32 v[4:5], v6, off
	s_cbranch_execnz .LBB0_6
	s_branch .LBB0_14
.LBB0_13:                               ;   in Loop: Header=BB0_7 Depth=1
.LBB0_14:                               ;   in Loop: Header=BB0_7 Depth=1
	global_load_b32 v7, v[4:5], off
	s_wait_loadcnt 0x0
	s_wait_xcnt 0x1
	v_fmac_f32_e32 v6, s12, v7
	global_store_b32 v[4:5], v6, off
	s_branch .LBB0_6
.LBB0_15:
	s_endpgm
	.section	.rodata,"a",@progbits
	.p2align	6, 0x0
	.amdhsa_kernel _ZN9rocsparseL13gemmit_kernelILj256EfEEviiNS_24const_host_device_scalarIT0_EEPKS2_iPKiS7_S5_S3_PS2_i21rocsparse_index_base_b
		.amdhsa_group_segment_fixed_size 0
		.amdhsa_private_segment_fixed_size 0
		.amdhsa_kernarg_size 84
		.amdhsa_user_sgpr_count 2
		.amdhsa_user_sgpr_dispatch_ptr 0
		.amdhsa_user_sgpr_queue_ptr 0
		.amdhsa_user_sgpr_kernarg_segment_ptr 1
		.amdhsa_user_sgpr_dispatch_id 0
		.amdhsa_user_sgpr_kernarg_preload_length 0
		.amdhsa_user_sgpr_kernarg_preload_offset 0
		.amdhsa_user_sgpr_private_segment_size 0
		.amdhsa_wavefront_size32 1
		.amdhsa_uses_dynamic_stack 0
		.amdhsa_enable_private_segment 0
		.amdhsa_system_sgpr_workgroup_id_x 1
		.amdhsa_system_sgpr_workgroup_id_y 1
		.amdhsa_system_sgpr_workgroup_id_z 0
		.amdhsa_system_sgpr_workgroup_info 0
		.amdhsa_system_vgpr_workitem_id 0
		.amdhsa_next_free_vgpr 8
		.amdhsa_next_free_sgpr 28
		.amdhsa_named_barrier_count 0
		.amdhsa_reserve_vcc 1
		.amdhsa_float_round_mode_32 0
		.amdhsa_float_round_mode_16_64 0
		.amdhsa_float_denorm_mode_32 3
		.amdhsa_float_denorm_mode_16_64 3
		.amdhsa_fp16_overflow 0
		.amdhsa_memory_ordered 1
		.amdhsa_forward_progress 1
		.amdhsa_inst_pref_size 5
		.amdhsa_round_robin_scheduling 0
		.amdhsa_exception_fp_ieee_invalid_op 0
		.amdhsa_exception_fp_denorm_src 0
		.amdhsa_exception_fp_ieee_div_zero 0
		.amdhsa_exception_fp_ieee_overflow 0
		.amdhsa_exception_fp_ieee_underflow 0
		.amdhsa_exception_fp_ieee_inexact 0
		.amdhsa_exception_int_div_zero 0
	.end_amdhsa_kernel
	.section	.text._ZN9rocsparseL13gemmit_kernelILj256EfEEviiNS_24const_host_device_scalarIT0_EEPKS2_iPKiS7_S5_S3_PS2_i21rocsparse_index_base_b,"axG",@progbits,_ZN9rocsparseL13gemmit_kernelILj256EfEEviiNS_24const_host_device_scalarIT0_EEPKS2_iPKiS7_S5_S3_PS2_i21rocsparse_index_base_b,comdat
.Lfunc_end0:
	.size	_ZN9rocsparseL13gemmit_kernelILj256EfEEviiNS_24const_host_device_scalarIT0_EEPKS2_iPKiS7_S5_S3_PS2_i21rocsparse_index_base_b, .Lfunc_end0-_ZN9rocsparseL13gemmit_kernelILj256EfEEviiNS_24const_host_device_scalarIT0_EEPKS2_iPKiS7_S5_S3_PS2_i21rocsparse_index_base_b
                                        ; -- End function
	.set _ZN9rocsparseL13gemmit_kernelILj256EfEEviiNS_24const_host_device_scalarIT0_EEPKS2_iPKiS7_S5_S3_PS2_i21rocsparse_index_base_b.num_vgpr, 8
	.set _ZN9rocsparseL13gemmit_kernelILj256EfEEviiNS_24const_host_device_scalarIT0_EEPKS2_iPKiS7_S5_S3_PS2_i21rocsparse_index_base_b.num_agpr, 0
	.set _ZN9rocsparseL13gemmit_kernelILj256EfEEviiNS_24const_host_device_scalarIT0_EEPKS2_iPKiS7_S5_S3_PS2_i21rocsparse_index_base_b.numbered_sgpr, 28
	.set _ZN9rocsparseL13gemmit_kernelILj256EfEEviiNS_24const_host_device_scalarIT0_EEPKS2_iPKiS7_S5_S3_PS2_i21rocsparse_index_base_b.num_named_barrier, 0
	.set _ZN9rocsparseL13gemmit_kernelILj256EfEEviiNS_24const_host_device_scalarIT0_EEPKS2_iPKiS7_S5_S3_PS2_i21rocsparse_index_base_b.private_seg_size, 0
	.set _ZN9rocsparseL13gemmit_kernelILj256EfEEviiNS_24const_host_device_scalarIT0_EEPKS2_iPKiS7_S5_S3_PS2_i21rocsparse_index_base_b.uses_vcc, 1
	.set _ZN9rocsparseL13gemmit_kernelILj256EfEEviiNS_24const_host_device_scalarIT0_EEPKS2_iPKiS7_S5_S3_PS2_i21rocsparse_index_base_b.uses_flat_scratch, 0
	.set _ZN9rocsparseL13gemmit_kernelILj256EfEEviiNS_24const_host_device_scalarIT0_EEPKS2_iPKiS7_S5_S3_PS2_i21rocsparse_index_base_b.has_dyn_sized_stack, 0
	.set _ZN9rocsparseL13gemmit_kernelILj256EfEEviiNS_24const_host_device_scalarIT0_EEPKS2_iPKiS7_S5_S3_PS2_i21rocsparse_index_base_b.has_recursion, 0
	.set _ZN9rocsparseL13gemmit_kernelILj256EfEEviiNS_24const_host_device_scalarIT0_EEPKS2_iPKiS7_S5_S3_PS2_i21rocsparse_index_base_b.has_indirect_call, 0
	.section	.AMDGPU.csdata,"",@progbits
; Kernel info:
; codeLenInByte = 616
; TotalNumSgprs: 30
; NumVgprs: 8
; ScratchSize: 0
; MemoryBound: 0
; FloatMode: 240
; IeeeMode: 1
; LDSByteSize: 0 bytes/workgroup (compile time only)
; SGPRBlocks: 0
; VGPRBlocks: 0
; NumSGPRsForWavesPerEU: 30
; NumVGPRsForWavesPerEU: 8
; NamedBarCnt: 0
; Occupancy: 16
; WaveLimiterHint : 1
; COMPUTE_PGM_RSRC2:SCRATCH_EN: 0
; COMPUTE_PGM_RSRC2:USER_SGPR: 2
; COMPUTE_PGM_RSRC2:TRAP_HANDLER: 0
; COMPUTE_PGM_RSRC2:TGID_X_EN: 1
; COMPUTE_PGM_RSRC2:TGID_Y_EN: 1
; COMPUTE_PGM_RSRC2:TGID_Z_EN: 0
; COMPUTE_PGM_RSRC2:TIDIG_COMP_CNT: 0
	.section	.text._ZN9rocsparseL13gemmit_kernelILj256EdEEviiNS_24const_host_device_scalarIT0_EEPKS2_iPKiS7_S5_S3_PS2_i21rocsparse_index_base_b,"axG",@progbits,_ZN9rocsparseL13gemmit_kernelILj256EdEEviiNS_24const_host_device_scalarIT0_EEPKS2_iPKiS7_S5_S3_PS2_i21rocsparse_index_base_b,comdat
	.globl	_ZN9rocsparseL13gemmit_kernelILj256EdEEviiNS_24const_host_device_scalarIT0_EEPKS2_iPKiS7_S5_S3_PS2_i21rocsparse_index_base_b ; -- Begin function _ZN9rocsparseL13gemmit_kernelILj256EdEEviiNS_24const_host_device_scalarIT0_EEPKS2_iPKiS7_S5_S3_PS2_i21rocsparse_index_base_b
	.p2align	8
	.type	_ZN9rocsparseL13gemmit_kernelILj256EdEEviiNS_24const_host_device_scalarIT0_EEPKS2_iPKiS7_S5_S3_PS2_i21rocsparse_index_base_b,@function
_ZN9rocsparseL13gemmit_kernelILj256EdEEviiNS_24const_host_device_scalarIT0_EEPKS2_iPKiS7_S5_S3_PS2_i21rocsparse_index_base_b: ; @_ZN9rocsparseL13gemmit_kernelILj256EdEEviiNS_24const_host_device_scalarIT0_EEPKS2_iPKiS7_S5_S3_PS2_i21rocsparse_index_base_b
; %bb.0:
	s_clause 0x2
	s_load_b96 s[8:10], s[0:1], 0x48
	s_load_b64 s[4:5], s[0:1], 0x8
	s_load_b64 s[2:3], s[0:1], 0x38
	s_wait_kmcnt 0x0
	s_bitcmp1_b32 s10, 0
	v_mov_b64_e32 v[2:3], s[4:5]
	s_cselect_b32 s6, -1, 0
	s_delay_alu instid0(SALU_CYCLE_1)
	s_and_b32 vcc_lo, exec_lo, s6
	s_xor_b32 s6, s6, -1
	s_cbranch_vccnz .LBB1_2
; %bb.1:
	v_mov_b32_e32 v1, 0
	flat_load_b64 v[2:3], v1, s[4:5]
.LBB1_2:
	v_mov_b64_e32 v[4:5], s[2:3]
	s_and_not1_b32 vcc_lo, exec_lo, s6
	s_cbranch_vccnz .LBB1_4
; %bb.3:
	s_wait_xcnt 0x0
	v_mov_b32_e32 v1, 0
	flat_load_b64 v[4:5], v1, s[2:3]
.LBB1_4:
	s_wait_xcnt 0x0
	s_load_b64 s[2:3], s[0:1], 0x0
	s_bfe_u32 s4, ttmp6, 0x4000c
	s_and_b32 s5, ttmp6, 15
	s_add_co_i32 s4, s4, 1
	s_getreg_b32 s12, hwreg(HW_REG_IB_STS2, 6, 4)
	s_mul_i32 s4, ttmp9, s4
	s_delay_alu instid0(SALU_CYCLE_1) | instskip(SKIP_2) | instid1(SALU_CYCLE_1)
	s_add_co_i32 s5, s5, s4
	s_cmp_eq_u32 s12, 0
	s_cselect_b32 s4, ttmp9, s5
	v_lshl_or_b32 v0, s4, 8, v0
	s_wait_kmcnt 0x0
	s_delay_alu instid0(VALU_DEP_1) | instskip(SKIP_3) | instid1(SALU_CYCLE_1)
	v_cmp_gt_i32_e32 vcc_lo, s2, v0
	s_cmp_gt_i32 s3, 0
	s_mov_b32 s2, 0
	s_cselect_b32 s4, -1, 0
	s_and_b32 s4, vcc_lo, s4
	s_delay_alu instid0(SALU_CYCLE_1)
	s_and_saveexec_b32 s5, s4
	s_cbranch_execz .LBB1_16
; %bb.5:
	s_clause 0x3
	s_load_b96 s[16:18], s[0:1], 0x10
	s_load_b64 s[14:15], s[0:1], 0x40
	s_load_b64 s[10:11], s[0:1], 0x30
	s_load_b128 s[4:7], s[0:1], 0x20
	v_ashrrev_i32_e32 v1, 31, v0
	s_wait_xcnt 0x0
	s_bfe_u32 s0, ttmp6, 0x40010
	s_bfe_u32 s19, ttmp6, 0x40004
	s_add_co_i32 s13, s0, 1
	s_wait_loadcnt_dscnt 0x0
	v_cmp_eq_f64_e32 vcc_lo, 0, v[4:5]
	v_lshlrev_b64_e32 v[6:7], 3, v[0:1]
	s_wait_kmcnt 0x0
	s_ashr_i32 s1, s18, 31
	s_mov_b32 s0, s18
	s_mul_i32 s18, ttmp7, s13
	s_delay_alu instid0(VALU_DEP_1)
	v_add_nc_u64_e32 v[0:1], s[16:17], v[6:7]
	v_add_nc_u64_e32 v[6:7], s[14:15], v[6:7]
	s_ashr_i32 s13, s8, 31
	s_add_co_i32 s19, s19, s18
	s_cmp_eq_u32 s12, 0
	s_mov_b32 s12, s8
	s_cselect_b32 s8, ttmp7, s19
	s_branch .LBB1_8
.LBB1_6:                                ;   in Loop: Header=BB1_8 Depth=1
	s_wait_xcnt 0x0
	s_or_b32 exec_lo, exec_lo, s14
.LBB1_7:                                ;   in Loop: Header=BB1_8 Depth=1
	s_add_co_i32 s2, s2, 0xffff
	s_delay_alu instid0(SALU_CYCLE_1)
	s_cmp_lt_i32 s2, s3
	s_cbranch_scc0 .LBB1_16
.LBB1_8:                                ; =>This Loop Header: Depth=1
                                        ;     Child Loop BB1_11 Depth 2
	s_add_co_i32 s14, s2, s8
	s_delay_alu instid0(SALU_CYCLE_1)
	s_cmp_ge_i32 s14, s3
	s_cbranch_scc1 .LBB1_7
; %bb.9:                                ;   in Loop: Header=BB1_8 Depth=1
	s_ashr_i32 s15, s14, 31
	v_mov_b64_e32 v[8:9], 0
	s_lshl_b64 s[16:17], s[14:15], 2
	s_delay_alu instid0(SALU_CYCLE_1)
	s_add_nc_u64 s[16:17], s[4:5], s[16:17]
	s_load_b64 s[18:19], s[16:17], 0x0
	s_wait_kmcnt 0x0
	s_cmp_ge_i32 s18, s19
	s_cbranch_scc1 .LBB1_12
; %bb.10:                               ;   in Loop: Header=BB1_8 Depth=1
	s_wait_xcnt 0x0
	s_sub_co_i32 s16, s18, s9
	v_mov_b64_e32 v[8:9], 0
	s_ashr_i32 s17, s16, 31
	s_sub_co_i32 s22, s19, s9
	s_lshl_b64 s[18:19], s[16:17], 2
	s_lshl_b64 s[20:21], s[16:17], 3
	s_add_nc_u64 s[18:19], s[6:7], s[18:19]
	s_add_nc_u64 s[20:21], s[10:11], s[20:21]
.LBB1_11:                               ;   Parent Loop BB1_8 Depth=1
                                        ; =>  This Inner Loop Header: Depth=2
	s_load_b32 s17, s[18:19], 0x0
	s_add_co_i32 s16, s16, 1
	s_wait_xcnt 0x0
	s_add_nc_u64 s[18:19], s[18:19], 4
	s_wait_kmcnt 0x0
	s_sub_co_i32 s24, s17, s9
	s_delay_alu instid0(SALU_CYCLE_1) | instskip(SKIP_2) | instid1(SALU_CYCLE_1)
	s_ashr_i32 s25, s24, 31
	s_cmp_ge_i32 s16, s22
	s_mul_u64 s[24:25], s[24:25], s[0:1]
	v_lshl_add_u64 v[10:11], s[24:25], 3, v[0:1]
	s_load_b64 s[24:25], s[20:21], 0x0
	s_wait_xcnt 0x0
	s_add_nc_u64 s[20:21], s[20:21], 8
	global_load_b64 v[10:11], v[10:11], off
	s_wait_loadcnt 0x0
	s_wait_kmcnt 0x0
	v_fmac_f64_e32 v[8:9], s[24:25], v[10:11]
	s_cbranch_scc0 .LBB1_11
.LBB1_12:                               ;   in Loop: Header=BB1_8 Depth=1
	s_delay_alu instid0(VALU_DEP_1) | instskip(SKIP_4) | instid1(SALU_CYCLE_1)
	v_mul_f64_e32 v[8:9], v[2:3], v[8:9]
	s_mul_u64 s[14:15], s[14:15], s[12:13]
	s_wait_xcnt 0x0
	v_lshl_add_u64 v[10:11], s[14:15], 3, v[6:7]
	s_and_saveexec_b32 s14, vcc_lo
	s_xor_b32 s14, exec_lo, s14
	s_cbranch_execz .LBB1_14
; %bb.13:                               ;   in Loop: Header=BB1_8 Depth=1
	global_store_b64 v[10:11], v[8:9], off
                                        ; implicit-def: $vgpr10_vgpr11
                                        ; implicit-def: $vgpr8_vgpr9
.LBB1_14:                               ;   in Loop: Header=BB1_8 Depth=1
	s_wait_xcnt 0x0
	s_and_not1_saveexec_b32 s14, s14
	s_cbranch_execz .LBB1_6
; %bb.15:                               ;   in Loop: Header=BB1_8 Depth=1
	global_load_b64 v[12:13], v[10:11], off
	s_wait_loadcnt 0x0
	v_fmac_f64_e32 v[8:9], v[4:5], v[12:13]
	global_store_b64 v[10:11], v[8:9], off
	s_branch .LBB1_6
.LBB1_16:
	s_endpgm
	.section	.rodata,"a",@progbits
	.p2align	6, 0x0
	.amdhsa_kernel _ZN9rocsparseL13gemmit_kernelILj256EdEEviiNS_24const_host_device_scalarIT0_EEPKS2_iPKiS7_S5_S3_PS2_i21rocsparse_index_base_b
		.amdhsa_group_segment_fixed_size 0
		.amdhsa_private_segment_fixed_size 0
		.amdhsa_kernarg_size 84
		.amdhsa_user_sgpr_count 2
		.amdhsa_user_sgpr_dispatch_ptr 0
		.amdhsa_user_sgpr_queue_ptr 0
		.amdhsa_user_sgpr_kernarg_segment_ptr 1
		.amdhsa_user_sgpr_dispatch_id 0
		.amdhsa_user_sgpr_kernarg_preload_length 0
		.amdhsa_user_sgpr_kernarg_preload_offset 0
		.amdhsa_user_sgpr_private_segment_size 0
		.amdhsa_wavefront_size32 1
		.amdhsa_uses_dynamic_stack 0
		.amdhsa_enable_private_segment 0
		.amdhsa_system_sgpr_workgroup_id_x 1
		.amdhsa_system_sgpr_workgroup_id_y 1
		.amdhsa_system_sgpr_workgroup_id_z 0
		.amdhsa_system_sgpr_workgroup_info 0
		.amdhsa_system_vgpr_workitem_id 0
		.amdhsa_next_free_vgpr 14
		.amdhsa_next_free_sgpr 26
		.amdhsa_named_barrier_count 0
		.amdhsa_reserve_vcc 1
		.amdhsa_float_round_mode_32 0
		.amdhsa_float_round_mode_16_64 0
		.amdhsa_float_denorm_mode_32 3
		.amdhsa_float_denorm_mode_16_64 3
		.amdhsa_fp16_overflow 0
		.amdhsa_memory_ordered 1
		.amdhsa_forward_progress 1
		.amdhsa_inst_pref_size 6
		.amdhsa_round_robin_scheduling 0
		.amdhsa_exception_fp_ieee_invalid_op 0
		.amdhsa_exception_fp_denorm_src 0
		.amdhsa_exception_fp_ieee_div_zero 0
		.amdhsa_exception_fp_ieee_overflow 0
		.amdhsa_exception_fp_ieee_underflow 0
		.amdhsa_exception_fp_ieee_inexact 0
		.amdhsa_exception_int_div_zero 0
	.end_amdhsa_kernel
	.section	.text._ZN9rocsparseL13gemmit_kernelILj256EdEEviiNS_24const_host_device_scalarIT0_EEPKS2_iPKiS7_S5_S3_PS2_i21rocsparse_index_base_b,"axG",@progbits,_ZN9rocsparseL13gemmit_kernelILj256EdEEviiNS_24const_host_device_scalarIT0_EEPKS2_iPKiS7_S5_S3_PS2_i21rocsparse_index_base_b,comdat
.Lfunc_end1:
	.size	_ZN9rocsparseL13gemmit_kernelILj256EdEEviiNS_24const_host_device_scalarIT0_EEPKS2_iPKiS7_S5_S3_PS2_i21rocsparse_index_base_b, .Lfunc_end1-_ZN9rocsparseL13gemmit_kernelILj256EdEEviiNS_24const_host_device_scalarIT0_EEPKS2_iPKiS7_S5_S3_PS2_i21rocsparse_index_base_b
                                        ; -- End function
	.set _ZN9rocsparseL13gemmit_kernelILj256EdEEviiNS_24const_host_device_scalarIT0_EEPKS2_iPKiS7_S5_S3_PS2_i21rocsparse_index_base_b.num_vgpr, 14
	.set _ZN9rocsparseL13gemmit_kernelILj256EdEEviiNS_24const_host_device_scalarIT0_EEPKS2_iPKiS7_S5_S3_PS2_i21rocsparse_index_base_b.num_agpr, 0
	.set _ZN9rocsparseL13gemmit_kernelILj256EdEEviiNS_24const_host_device_scalarIT0_EEPKS2_iPKiS7_S5_S3_PS2_i21rocsparse_index_base_b.numbered_sgpr, 26
	.set _ZN9rocsparseL13gemmit_kernelILj256EdEEviiNS_24const_host_device_scalarIT0_EEPKS2_iPKiS7_S5_S3_PS2_i21rocsparse_index_base_b.num_named_barrier, 0
	.set _ZN9rocsparseL13gemmit_kernelILj256EdEEviiNS_24const_host_device_scalarIT0_EEPKS2_iPKiS7_S5_S3_PS2_i21rocsparse_index_base_b.private_seg_size, 0
	.set _ZN9rocsparseL13gemmit_kernelILj256EdEEviiNS_24const_host_device_scalarIT0_EEPKS2_iPKiS7_S5_S3_PS2_i21rocsparse_index_base_b.uses_vcc, 1
	.set _ZN9rocsparseL13gemmit_kernelILj256EdEEviiNS_24const_host_device_scalarIT0_EEPKS2_iPKiS7_S5_S3_PS2_i21rocsparse_index_base_b.uses_flat_scratch, 0
	.set _ZN9rocsparseL13gemmit_kernelILj256EdEEviiNS_24const_host_device_scalarIT0_EEPKS2_iPKiS7_S5_S3_PS2_i21rocsparse_index_base_b.has_dyn_sized_stack, 0
	.set _ZN9rocsparseL13gemmit_kernelILj256EdEEviiNS_24const_host_device_scalarIT0_EEPKS2_iPKiS7_S5_S3_PS2_i21rocsparse_index_base_b.has_recursion, 0
	.set _ZN9rocsparseL13gemmit_kernelILj256EdEEviiNS_24const_host_device_scalarIT0_EEPKS2_iPKiS7_S5_S3_PS2_i21rocsparse_index_base_b.has_indirect_call, 0
	.section	.AMDGPU.csdata,"",@progbits
; Kernel info:
; codeLenInByte = 652
; TotalNumSgprs: 28
; NumVgprs: 14
; ScratchSize: 0
; MemoryBound: 0
; FloatMode: 240
; IeeeMode: 1
; LDSByteSize: 0 bytes/workgroup (compile time only)
; SGPRBlocks: 0
; VGPRBlocks: 0
; NumSGPRsForWavesPerEU: 28
; NumVGPRsForWavesPerEU: 14
; NamedBarCnt: 0
; Occupancy: 16
; WaveLimiterHint : 1
; COMPUTE_PGM_RSRC2:SCRATCH_EN: 0
; COMPUTE_PGM_RSRC2:USER_SGPR: 2
; COMPUTE_PGM_RSRC2:TRAP_HANDLER: 0
; COMPUTE_PGM_RSRC2:TGID_X_EN: 1
; COMPUTE_PGM_RSRC2:TGID_Y_EN: 1
; COMPUTE_PGM_RSRC2:TGID_Z_EN: 0
; COMPUTE_PGM_RSRC2:TIDIG_COMP_CNT: 0
	.section	.text._ZN9rocsparseL13gemmit_kernelILj256E21rocsparse_complex_numIfEEEviiNS_24const_host_device_scalarIT0_EEPKS4_iPKiS9_S7_S5_PS4_i21rocsparse_index_base_b,"axG",@progbits,_ZN9rocsparseL13gemmit_kernelILj256E21rocsparse_complex_numIfEEEviiNS_24const_host_device_scalarIT0_EEPKS4_iPKiS9_S7_S5_PS4_i21rocsparse_index_base_b,comdat
	.globl	_ZN9rocsparseL13gemmit_kernelILj256E21rocsparse_complex_numIfEEEviiNS_24const_host_device_scalarIT0_EEPKS4_iPKiS9_S7_S5_PS4_i21rocsparse_index_base_b ; -- Begin function _ZN9rocsparseL13gemmit_kernelILj256E21rocsparse_complex_numIfEEEviiNS_24const_host_device_scalarIT0_EEPKS4_iPKiS9_S7_S5_PS4_i21rocsparse_index_base_b
	.p2align	8
	.type	_ZN9rocsparseL13gemmit_kernelILj256E21rocsparse_complex_numIfEEEviiNS_24const_host_device_scalarIT0_EEPKS4_iPKiS9_S7_S5_PS4_i21rocsparse_index_base_b,@function
_ZN9rocsparseL13gemmit_kernelILj256E21rocsparse_complex_numIfEEEviiNS_24const_host_device_scalarIT0_EEPKS4_iPKiS9_S7_S5_PS4_i21rocsparse_index_base_b: ; @_ZN9rocsparseL13gemmit_kernelILj256E21rocsparse_complex_numIfEEEviiNS_24const_host_device_scalarIT0_EEPKS4_iPKiS9_S7_S5_PS4_i21rocsparse_index_base_b
; %bb.0:
	s_clause 0x2
	s_load_b96 s[8:10], s[0:1], 0x48
	s_load_b64 s[6:7], s[0:1], 0x8
	s_load_b64 s[4:5], s[0:1], 0x38
	s_wait_kmcnt 0x0
	s_bitcmp1_b32 s10, 0
	s_cselect_b32 s2, -1, 0
	s_delay_alu instid0(SALU_CYCLE_1)
	s_xor_b32 s3, s2, -1
	s_and_b32 vcc_lo, exec_lo, s2
	s_mov_b32 s2, s6
	s_cbranch_vccz .LBB2_17
; %bb.1:
	v_cndmask_b32_e64 v1, 0, 1, s3
	s_and_not1_b32 vcc_lo, exec_lo, s3
	s_mov_b32 s3, s7
	s_cbranch_vccz .LBB2_18
.LBB2_2:
	s_delay_alu instid0(VALU_DEP_1)
	v_cmp_ne_u32_e32 vcc_lo, 1, v1
	s_mov_b32 s10, s4
	s_cbranch_vccz .LBB2_19
.LBB2_3:
	v_cmp_ne_u32_e32 vcc_lo, 1, v1
	s_mov_b32 s11, s5
	s_cbranch_vccnz .LBB2_5
.LBB2_4:
	s_load_b32 s11, s[4:5], 0x4
.LBB2_5:
	s_load_b64 s[14:15], s[0:1], 0x0
	s_wait_xcnt 0x0
	s_bfe_u32 s4, ttmp6, 0x4000c
	s_and_b32 s5, ttmp6, 15
	s_add_co_i32 s4, s4, 1
	s_getreg_b32 s16, hwreg(HW_REG_IB_STS2, 6, 4)
	s_mul_i32 s4, ttmp9, s4
	s_mov_b32 s30, 0
	s_add_co_i32 s5, s5, s4
	s_cmp_eq_u32 s16, 0
	s_cselect_b32 s4, ttmp9, s5
	s_delay_alu instid0(SALU_CYCLE_1) | instskip(SKIP_1) | instid1(VALU_DEP_1)
	v_lshl_or_b32 v0, s4, 8, v0
	s_wait_kmcnt 0x0
	v_cmp_gt_i32_e32 vcc_lo, s14, v0
	s_cmp_gt_i32 s15, 0
	s_cselect_b32 s4, -1, 0
	s_delay_alu instid0(SALU_CYCLE_1) | instskip(NEXT) | instid1(SALU_CYCLE_1)
	s_and_b32 s4, vcc_lo, s4
	s_and_saveexec_b32 s5, s4
	s_cbranch_execz .LBB2_16
; %bb.6:
	s_clause 0x3
	s_load_b96 s[12:14], s[0:1], 0x10
	s_load_b128 s[4:7], s[0:1], 0x20
	s_load_b64 s[22:23], s[0:1], 0x30
	s_load_b64 s[24:25], s[0:1], 0x40
	s_wait_xcnt 0x0
	s_bfe_u32 s0, ttmp6, 0x40010
	v_ashrrev_i32_e32 v1, 31, v0
	s_add_co_i32 s0, s0, 1
	s_bfe_u32 s17, ttmp6, 0x40004
	s_mul_i32 s18, ttmp7, s0
	s_ashr_i32 s1, s8, 31
	s_mov_b32 s0, s8
	s_add_co_i32 s8, s17, s18
	v_lshlrev_b64_e32 v[2:3], 3, v[0:1]
	s_mov_b32 s19, s2
	s_mov_b32 s21, s10
	s_wait_kmcnt 0x0
	s_ashr_i32 s17, s14, 31
	s_cmp_eq_u32 s16, 0
	s_delay_alu instid0(VALU_DEP_1)
	v_add_nc_u64_e32 v[0:1], s[12:13], v[2:3]
	s_cselect_b32 s8, ttmp7, s8
	s_and_b32 s16, s10, 0x7fffffff
	v_add_nc_u64_e32 v[2:3], s[24:25], v[2:3]
	s_cmp_eq_u32 s16, 0
	s_mov_b32 s16, s14
	s_cselect_b32 s26, -1, 0
	s_cmp_eq_f32 s11, 0
	s_cselect_b32 s12, -1, 0
	s_xor_b32 s18, s3, 0x80000000
	s_xor_b32 s20, s11, 0x80000000
	s_and_b32 s14, s26, s12
	s_add_nc_u64 s[12:13], s[22:23], 4
	s_branch .LBB2_8
.LBB2_7:                                ;   in Loop: Header=BB2_8 Depth=1
	s_add_co_i32 s30, s30, 0xffff
	s_delay_alu instid0(SALU_CYCLE_1)
	s_cmp_lt_i32 s30, s15
	s_cbranch_scc0 .LBB2_16
.LBB2_8:                                ; =>This Loop Header: Depth=1
                                        ;     Child Loop BB2_11 Depth 2
	s_add_co_i32 s22, s30, s8
	s_delay_alu instid0(SALU_CYCLE_1)
	s_cmp_ge_i32 s22, s15
	s_cbranch_scc1 .LBB2_7
; %bb.9:                                ;   in Loop: Header=BB2_8 Depth=1
	s_ashr_i32 s23, s22, 31
	s_wait_xcnt 0x0
	v_mov_b32_e32 v5, 0
	s_lshl_b64 s[24:25], s[22:23], 2
	s_delay_alu instid0(SALU_CYCLE_1) | instskip(NEXT) | instid1(VALU_DEP_1)
	s_add_nc_u64 s[24:25], s[4:5], s[24:25]
	v_mov_b32_e32 v4, v5
	s_load_b64 s[26:27], s[24:25], 0x0
	s_wait_kmcnt 0x0
	s_cmp_ge_i32 s26, s27
	s_cbranch_scc1 .LBB2_12
; %bb.10:                               ;   in Loop: Header=BB2_8 Depth=1
	v_mov_b32_e32 v4, 0
	s_wait_xcnt 0x0
	s_sub_co_i32 s24, s26, s9
	s_sub_co_i32 s31, s27, s9
	s_ashr_i32 s25, s24, 31
	s_delay_alu instid0(SALU_CYCLE_1)
	s_lshl_b64 s[26:27], s[24:25], 2
	v_mov_b32_e32 v5, v4
	s_lshl_b64 s[28:29], s[24:25], 3
	s_add_nc_u64 s[26:27], s[6:7], s[26:27]
	s_add_nc_u64 s[28:29], s[12:13], s[28:29]
.LBB2_11:                               ;   Parent Loop BB2_8 Depth=1
                                        ; =>  This Inner Loop Header: Depth=2
	s_load_b32 s25, s[26:27], 0x0
	s_add_co_i32 s24, s24, 1
	s_wait_xcnt 0x0
	s_add_nc_u64 s[26:27], s[26:27], 4
	s_wait_kmcnt 0x0
	s_sub_co_i32 s34, s25, s9
	s_delay_alu instid0(SALU_CYCLE_1) | instskip(SKIP_2) | instid1(SALU_CYCLE_1)
	s_ashr_i32 s35, s34, 31
	s_cmp_ge_i32 s24, s31
	s_mul_u64 s[34:35], s[34:35], s[16:17]
	v_lshl_add_u64 v[6:7], s[34:35], 3, v[0:1]
	s_add_nc_u64 s[34:35], s[28:29], -4
	s_add_nc_u64 s[28:29], s[28:29], 8
	s_load_b64 s[36:37], s[34:35], 0x0
	global_load_b64 v[6:7], v[6:7], off
	s_wait_kmcnt 0x0
	v_mov_b64_e32 v[8:9], s[36:37]
	s_wait_loadcnt 0x0
	v_pk_fma_f32 v[4:5], v[6:7], s[36:37], v[4:5] op_sel_hi:[1,0,1]
	s_delay_alu instid0(VALU_DEP_1)
	v_pk_fma_f32 v[4:5], v[6:7], v[8:9], v[4:5] op_sel:[1,1,0] op_sel_hi:[0,1,1] neg_lo:[1,0,0]
	s_cbranch_scc0 .LBB2_11
.LBB2_12:                               ;   in Loop: Header=BB2_8 Depth=1
	s_mul_u64 s[22:23], s[22:23], s[0:1]
	s_and_b32 vcc_lo, exec_lo, s14
	s_wait_xcnt 0x0
	v_lshl_add_u64 v[6:7], s[22:23], 3, v[2:3]
	s_mov_b32 s22, -1
	s_cbranch_vccz .LBB2_14
; %bb.13:                               ;   in Loop: Header=BB2_8 Depth=1
	v_mov_b64_e32 v[8:9], s[18:19]
	v_mov_b64_e32 v[10:11], s[2:3]
	s_mov_b32 s22, 0
	s_delay_alu instid0(VALU_DEP_2) | instskip(NEXT) | instid1(VALU_DEP_1)
	v_pk_mul_f32 v[8:9], v[4:5], v[8:9] op_sel:[1,0]
	v_pk_fma_f32 v[8:9], v[10:11], v[4:5], v[8:9] op_sel_hi:[1,0,1]
	global_store_b64 v[6:7], v[8:9], off
.LBB2_14:                               ;   in Loop: Header=BB2_8 Depth=1
	s_and_not1_b32 vcc_lo, exec_lo, s22
	s_cbranch_vccnz .LBB2_7
; %bb.15:                               ;   in Loop: Header=BB2_8 Depth=1
	global_load_b64 v[8:9], v[6:7], off
	v_mov_b64_e32 v[10:11], s[18:19]
	v_mov_b64_e32 v[12:13], s[2:3]
	;; [unrolled: 1-line block ×3, first 2 shown]
	s_delay_alu instid0(VALU_DEP_3) | instskip(NEXT) | instid1(VALU_DEP_1)
	v_pk_mul_f32 v[10:11], v[4:5], v[10:11] op_sel:[1,0]
	v_pk_fma_f32 v[4:5], v[12:13], v[4:5], v[10:11] op_sel_hi:[1,0,1]
	v_mov_b64_e32 v[10:11], s[20:21]
	s_wait_loadcnt 0x0
	s_delay_alu instid0(VALU_DEP_2) | instskip(NEXT) | instid1(VALU_DEP_1)
	v_pk_fma_f32 v[4:5], v[14:15], v[8:9], v[4:5] op_sel_hi:[1,0,1]
	v_pk_fma_f32 v[4:5], v[10:11], v[8:9], v[4:5] op_sel:[0,1,0]
	global_store_b64 v[6:7], v[4:5], off
	s_branch .LBB2_7
.LBB2_16:
	s_endpgm
.LBB2_17:
	s_load_b32 s2, s[6:7], 0x0
	v_cndmask_b32_e64 v1, 0, 1, s3
	s_and_not1_b32 vcc_lo, exec_lo, s3
	s_mov_b32 s3, s7
	s_cbranch_vccnz .LBB2_2
.LBB2_18:
	s_load_b32 s3, s[6:7], 0x4
	v_cmp_ne_u32_e32 vcc_lo, 1, v1
	s_mov_b32 s10, s4
	s_cbranch_vccnz .LBB2_3
.LBB2_19:
	s_load_b32 s10, s[4:5], 0x0
	v_cmp_ne_u32_e32 vcc_lo, 1, v1
	s_mov_b32 s11, s5
	s_cbranch_vccz .LBB2_4
	s_branch .LBB2_5
	.section	.rodata,"a",@progbits
	.p2align	6, 0x0
	.amdhsa_kernel _ZN9rocsparseL13gemmit_kernelILj256E21rocsparse_complex_numIfEEEviiNS_24const_host_device_scalarIT0_EEPKS4_iPKiS9_S7_S5_PS4_i21rocsparse_index_base_b
		.amdhsa_group_segment_fixed_size 0
		.amdhsa_private_segment_fixed_size 0
		.amdhsa_kernarg_size 84
		.amdhsa_user_sgpr_count 2
		.amdhsa_user_sgpr_dispatch_ptr 0
		.amdhsa_user_sgpr_queue_ptr 0
		.amdhsa_user_sgpr_kernarg_segment_ptr 1
		.amdhsa_user_sgpr_dispatch_id 0
		.amdhsa_user_sgpr_kernarg_preload_length 0
		.amdhsa_user_sgpr_kernarg_preload_offset 0
		.amdhsa_user_sgpr_private_segment_size 0
		.amdhsa_wavefront_size32 1
		.amdhsa_uses_dynamic_stack 0
		.amdhsa_enable_private_segment 0
		.amdhsa_system_sgpr_workgroup_id_x 1
		.amdhsa_system_sgpr_workgroup_id_y 1
		.amdhsa_system_sgpr_workgroup_id_z 0
		.amdhsa_system_sgpr_workgroup_info 0
		.amdhsa_system_vgpr_workitem_id 0
		.amdhsa_next_free_vgpr 16
		.amdhsa_next_free_sgpr 38
		.amdhsa_named_barrier_count 0
		.amdhsa_reserve_vcc 1
		.amdhsa_float_round_mode_32 0
		.amdhsa_float_round_mode_16_64 0
		.amdhsa_float_denorm_mode_32 3
		.amdhsa_float_denorm_mode_16_64 3
		.amdhsa_fp16_overflow 0
		.amdhsa_memory_ordered 1
		.amdhsa_forward_progress 1
		.amdhsa_inst_pref_size 7
		.amdhsa_round_robin_scheduling 0
		.amdhsa_exception_fp_ieee_invalid_op 0
		.amdhsa_exception_fp_denorm_src 0
		.amdhsa_exception_fp_ieee_div_zero 0
		.amdhsa_exception_fp_ieee_overflow 0
		.amdhsa_exception_fp_ieee_underflow 0
		.amdhsa_exception_fp_ieee_inexact 0
		.amdhsa_exception_int_div_zero 0
	.end_amdhsa_kernel
	.section	.text._ZN9rocsparseL13gemmit_kernelILj256E21rocsparse_complex_numIfEEEviiNS_24const_host_device_scalarIT0_EEPKS4_iPKiS9_S7_S5_PS4_i21rocsparse_index_base_b,"axG",@progbits,_ZN9rocsparseL13gemmit_kernelILj256E21rocsparse_complex_numIfEEEviiNS_24const_host_device_scalarIT0_EEPKS4_iPKiS9_S7_S5_PS4_i21rocsparse_index_base_b,comdat
.Lfunc_end2:
	.size	_ZN9rocsparseL13gemmit_kernelILj256E21rocsparse_complex_numIfEEEviiNS_24const_host_device_scalarIT0_EEPKS4_iPKiS9_S7_S5_PS4_i21rocsparse_index_base_b, .Lfunc_end2-_ZN9rocsparseL13gemmit_kernelILj256E21rocsparse_complex_numIfEEEviiNS_24const_host_device_scalarIT0_EEPKS4_iPKiS9_S7_S5_PS4_i21rocsparse_index_base_b
                                        ; -- End function
	.set _ZN9rocsparseL13gemmit_kernelILj256E21rocsparse_complex_numIfEEEviiNS_24const_host_device_scalarIT0_EEPKS4_iPKiS9_S7_S5_PS4_i21rocsparse_index_base_b.num_vgpr, 16
	.set _ZN9rocsparseL13gemmit_kernelILj256E21rocsparse_complex_numIfEEEviiNS_24const_host_device_scalarIT0_EEPKS4_iPKiS9_S7_S5_PS4_i21rocsparse_index_base_b.num_agpr, 0
	.set _ZN9rocsparseL13gemmit_kernelILj256E21rocsparse_complex_numIfEEEviiNS_24const_host_device_scalarIT0_EEPKS4_iPKiS9_S7_S5_PS4_i21rocsparse_index_base_b.numbered_sgpr, 38
	.set _ZN9rocsparseL13gemmit_kernelILj256E21rocsparse_complex_numIfEEEviiNS_24const_host_device_scalarIT0_EEPKS4_iPKiS9_S7_S5_PS4_i21rocsparse_index_base_b.num_named_barrier, 0
	.set _ZN9rocsparseL13gemmit_kernelILj256E21rocsparse_complex_numIfEEEviiNS_24const_host_device_scalarIT0_EEPKS4_iPKiS9_S7_S5_PS4_i21rocsparse_index_base_b.private_seg_size, 0
	.set _ZN9rocsparseL13gemmit_kernelILj256E21rocsparse_complex_numIfEEEviiNS_24const_host_device_scalarIT0_EEPKS4_iPKiS9_S7_S5_PS4_i21rocsparse_index_base_b.uses_vcc, 1
	.set _ZN9rocsparseL13gemmit_kernelILj256E21rocsparse_complex_numIfEEEviiNS_24const_host_device_scalarIT0_EEPKS4_iPKiS9_S7_S5_PS4_i21rocsparse_index_base_b.uses_flat_scratch, 0
	.set _ZN9rocsparseL13gemmit_kernelILj256E21rocsparse_complex_numIfEEEviiNS_24const_host_device_scalarIT0_EEPKS4_iPKiS9_S7_S5_PS4_i21rocsparse_index_base_b.has_dyn_sized_stack, 0
	.set _ZN9rocsparseL13gemmit_kernelILj256E21rocsparse_complex_numIfEEEviiNS_24const_host_device_scalarIT0_EEPKS4_iPKiS9_S7_S5_PS4_i21rocsparse_index_base_b.has_recursion, 0
	.set _ZN9rocsparseL13gemmit_kernelILj256E21rocsparse_complex_numIfEEEviiNS_24const_host_device_scalarIT0_EEPKS4_iPKiS9_S7_S5_PS4_i21rocsparse_index_base_b.has_indirect_call, 0
	.section	.AMDGPU.csdata,"",@progbits
; Kernel info:
; codeLenInByte = 876
; TotalNumSgprs: 40
; NumVgprs: 16
; ScratchSize: 0
; MemoryBound: 0
; FloatMode: 240
; IeeeMode: 1
; LDSByteSize: 0 bytes/workgroup (compile time only)
; SGPRBlocks: 0
; VGPRBlocks: 0
; NumSGPRsForWavesPerEU: 40
; NumVGPRsForWavesPerEU: 16
; NamedBarCnt: 0
; Occupancy: 16
; WaveLimiterHint : 1
; COMPUTE_PGM_RSRC2:SCRATCH_EN: 0
; COMPUTE_PGM_RSRC2:USER_SGPR: 2
; COMPUTE_PGM_RSRC2:TRAP_HANDLER: 0
; COMPUTE_PGM_RSRC2:TGID_X_EN: 1
; COMPUTE_PGM_RSRC2:TGID_Y_EN: 1
; COMPUTE_PGM_RSRC2:TGID_Z_EN: 0
; COMPUTE_PGM_RSRC2:TIDIG_COMP_CNT: 0
	.section	.text._ZN9rocsparseL13gemmit_kernelILj256E21rocsparse_complex_numIdEEEviiNS_24const_host_device_scalarIT0_EEPKS4_iPKiS9_S7_S5_PS4_i21rocsparse_index_base_b,"axG",@progbits,_ZN9rocsparseL13gemmit_kernelILj256E21rocsparse_complex_numIdEEEviiNS_24const_host_device_scalarIT0_EEPKS4_iPKiS9_S7_S5_PS4_i21rocsparse_index_base_b,comdat
	.globl	_ZN9rocsparseL13gemmit_kernelILj256E21rocsparse_complex_numIdEEEviiNS_24const_host_device_scalarIT0_EEPKS4_iPKiS9_S7_S5_PS4_i21rocsparse_index_base_b ; -- Begin function _ZN9rocsparseL13gemmit_kernelILj256E21rocsparse_complex_numIdEEEviiNS_24const_host_device_scalarIT0_EEPKS4_iPKiS9_S7_S5_PS4_i21rocsparse_index_base_b
	.p2align	8
	.type	_ZN9rocsparseL13gemmit_kernelILj256E21rocsparse_complex_numIdEEEviiNS_24const_host_device_scalarIT0_EEPKS4_iPKiS9_S7_S5_PS4_i21rocsparse_index_base_b,@function
_ZN9rocsparseL13gemmit_kernelILj256E21rocsparse_complex_numIdEEEviiNS_24const_host_device_scalarIT0_EEPKS4_iPKiS9_S7_S5_PS4_i21rocsparse_index_base_b: ; @_ZN9rocsparseL13gemmit_kernelILj256E21rocsparse_complex_numIdEEEviiNS_24const_host_device_scalarIT0_EEPKS4_iPKiS9_S7_S5_PS4_i21rocsparse_index_base_b
; %bb.0:
	s_clause 0x1
	s_load_b96 s[12:14], s[0:1], 0x58
	s_load_b128 s[4:7], s[0:1], 0x8
	v_mbcnt_lo_u32_b32 v1, -1, 0
	s_delay_alu instid0(VALU_DEP_1) | instskip(NEXT) | instid1(VALU_DEP_1)
	v_dual_mov_b32 v2, 0 :: v_dual_lshlrev_b32 v3, 20, v1
	v_add_nc_u64_e32 v[2:3], src_flat_scratch_base_lo, v[2:3]
	s_wait_kmcnt 0x0
	s_bitcmp1_b32 s14, 0
	v_mov_b64_e32 v[4:5], s[4:5]
	s_cselect_b32 s2, -1, 0
	v_mov_b64_e32 v[10:11], s[6:7]
	s_delay_alu instid0(VALU_DEP_3)
	v_cndmask_b32_e64 v3, s5, v3, s2
	v_cndmask_b32_e64 v2, s4, v2, s2
	s_and_b32 vcc_lo, exec_lo, s2
	scratch_store_b64 off, v[4:5], off
	flat_load_b64 v[8:9], v[2:3]
	s_cbranch_vccnz .LBB3_2
; %bb.1:
	v_mov_b32_e32 v1, 0
	flat_load_b64 v[10:11], v1, s[4:5] offset:8
.LBB3_2:
	s_load_b64 s[14:15], s[0:1], 0x0
	s_bfe_u32 s3, ttmp6, 0x4000c
	s_and_b32 s4, ttmp6, 15
	s_add_co_i32 s3, s3, 1
	s_delay_alu instid0(SALU_CYCLE_1) | instskip(SKIP_4) | instid1(SALU_CYCLE_1)
	s_mul_i32 s5, ttmp9, s3
	s_getreg_b32 s3, hwreg(HW_REG_IB_STS2, 6, 4)
	s_add_co_i32 s4, s4, s5
	s_cmp_eq_u32 s3, 0
	s_cselect_b32 s4, ttmp9, s4
	v_lshl_or_b32 v4, s4, 8, v0
	s_wait_kmcnt 0x0
	s_delay_alu instid0(VALU_DEP_1) | instskip(SKIP_2) | instid1(SALU_CYCLE_1)
	v_cmp_gt_i32_e32 vcc_lo, s14, v4
	s_cmp_gt_i32 s15, 0
	s_cselect_b32 s4, -1, 0
	s_and_b32 s4, vcc_lo, s4
	s_delay_alu instid0(SALU_CYCLE_1)
	s_and_saveexec_b32 s5, s4
	s_cbranch_execz .LBB3_14
; %bb.3:
	s_clause 0x1
	s_load_b96 s[16:18], s[0:1], 0x18
	s_load_b256 s[4:11], s[0:1], 0x28
	v_dual_mov_b32 v0, 0 :: v_dual_ashrrev_i32 v5, 31, v4
	s_add_nc_u64 s[20:21], s[0:1], 64
	s_mov_b32 s14, 0
	s_delay_alu instid0(VALU_DEP_1)
	v_lshlrev_b64_e32 v[4:5], 4, v[4:5]
	s_wait_kmcnt 0x0
	s_ashr_i32 s19, s18, 31
	s_and_b32 s2, exec_lo, s2
	s_cselect_b32 s11, s21, s11
	s_cselect_b32 s10, s20, s10
	s_delay_alu instid0(VALU_DEP_1)
	v_add_nc_u64_e32 v[12:13], s[16:17], v[4:5]
	flat_load_b128 v[0:3], v0, s[10:11]
	s_wait_xcnt 0x0
	s_load_b64 s[10:11], s[0:1], 0x50
	s_wait_xcnt 0x0
	s_bfe_u32 s1, ttmp6, 0x40010
	s_mov_b32 s0, s12
	s_add_co_i32 s1, s1, 1
	s_wait_kmcnt 0x0
	v_add_nc_u64_e32 v[14:15], s[10:11], v[4:5]
	s_bfe_u32 s10, ttmp6, 0x40004
	s_mul_i32 s11, ttmp7, s1
	s_ashr_i32 s1, s12, 31
	s_add_co_i32 s10, s10, s11
	s_cmp_eq_u32 s3, 0
	s_cselect_b32 s12, ttmp7, s10
	s_wait_loadcnt_dscnt 0x0
	v_cmp_eq_f64_e32 vcc_lo, 0, v[0:1]
	v_cmp_eq_f64_e64 s2, 0, v[2:3]
	s_and_b32 s22, vcc_lo, s2
	s_add_nc_u64 s[2:3], s[8:9], 8
	s_branch .LBB3_6
.LBB3_4:                                ;   in Loop: Header=BB3_6 Depth=1
	s_wait_xcnt 0x0
	s_or_b32 exec_lo, exec_lo, s8
.LBB3_5:                                ;   in Loop: Header=BB3_6 Depth=1
	s_add_co_i32 s14, s14, 0xffff
	s_delay_alu instid0(SALU_CYCLE_1)
	s_cmp_lt_i32 s14, s15
	s_cbranch_scc0 .LBB3_14
.LBB3_6:                                ; =>This Loop Header: Depth=1
                                        ;     Child Loop BB3_9 Depth 2
	s_add_co_i32 s8, s14, s12
	s_delay_alu instid0(SALU_CYCLE_1)
	s_cmp_ge_i32 s8, s15
	s_cbranch_scc1 .LBB3_5
; %bb.7:                                ;   in Loop: Header=BB3_6 Depth=1
	s_ashr_i32 s9, s8, 31
	v_mov_b64_e32 v[6:7], 0
	s_lshl_b64 s[10:11], s[8:9], 2
	v_mov_b64_e32 v[16:17], 0
	s_add_nc_u64 s[10:11], s[4:5], s[10:11]
	s_load_b64 s[16:17], s[10:11], 0x0
	s_wait_kmcnt 0x0
	s_cmp_ge_i32 s16, s17
	s_cbranch_scc1 .LBB3_10
; %bb.8:                                ;   in Loop: Header=BB3_6 Depth=1
	s_wait_xcnt 0x0
	s_sub_co_i32 s10, s16, s13
	v_mov_b64_e32 v[6:7], 0
	v_mov_b64_e32 v[16:17], 0
	s_ashr_i32 s11, s10, 31
	s_sub_co_i32 s23, s17, s13
	s_lshl_b64 s[16:17], s[10:11], 2
	s_lshl_b64 s[20:21], s[10:11], 4
	s_add_nc_u64 s[16:17], s[6:7], s[16:17]
	s_add_nc_u64 s[20:21], s[2:3], s[20:21]
.LBB3_9:                                ;   Parent Loop BB3_6 Depth=1
                                        ; =>  This Inner Loop Header: Depth=2
	s_load_b32 s11, s[16:17], 0x0
	s_add_nc_u64 s[28:29], s[20:21], -8
	s_add_co_i32 s10, s10, 1
	s_wait_xcnt 0x0
	s_add_nc_u64 s[16:17], s[16:17], 4
	s_add_nc_u64 s[20:21], s[20:21], 16
	s_wait_kmcnt 0x0
	s_sub_co_i32 s24, s11, s13
	s_delay_alu instid0(SALU_CYCLE_1) | instskip(SKIP_2) | instid1(SALU_CYCLE_1)
	s_ashr_i32 s25, s24, 31
	s_cmp_ge_i32 s10, s23
	s_mul_u64 s[24:25], s[24:25], s[18:19]
	v_lshl_add_u64 v[4:5], s[24:25], 4, v[12:13]
	s_load_b128 s[24:27], s[28:29], 0x0
	global_load_b128 v[18:21], v[4:5], off
	s_wait_loadcnt 0x0
	s_wait_kmcnt 0x0
	v_fmac_f64_e32 v[16:17], s[24:25], v[18:19]
	v_fmac_f64_e32 v[6:7], s[24:25], v[20:21]
	s_delay_alu instid0(VALU_DEP_2) | instskip(NEXT) | instid1(VALU_DEP_2)
	v_fma_f64 v[16:17], -v[20:21], s[26:27], v[16:17]
	v_fmac_f64_e32 v[6:7], s[26:27], v[18:19]
	s_cbranch_scc0 .LBB3_9
.LBB3_10:                               ;   in Loop: Header=BB3_6 Depth=1
	s_wait_xcnt 0x0
	s_delay_alu instid0(VALU_DEP_1) | instskip(SKIP_2) | instid1(VALU_DEP_2)
	v_mul_f64_e64 v[4:5], v[6:7], -v[10:11]
	v_mul_f64_e32 v[6:7], v[8:9], v[6:7]
	s_mul_u64 s[8:9], s[8:9], s[0:1]
	v_fmac_f64_e32 v[4:5], v[8:9], v[16:17]
	s_delay_alu instid0(VALU_DEP_2) | instskip(SKIP_2) | instid1(SALU_CYCLE_1)
	v_fmac_f64_e32 v[6:7], v[10:11], v[16:17]
	v_lshl_add_u64 v[16:17], s[8:9], 4, v[14:15]
	s_and_saveexec_b32 s8, s22
	s_xor_b32 s8, exec_lo, s8
	s_cbranch_execz .LBB3_12
; %bb.11:                               ;   in Loop: Header=BB3_6 Depth=1
	global_store_b128 v[16:17], v[4:7], off
                                        ; implicit-def: $vgpr16_vgpr17
                                        ; implicit-def: $vgpr4_vgpr5
.LBB3_12:                               ;   in Loop: Header=BB3_6 Depth=1
	s_wait_xcnt 0x0
	s_and_not1_saveexec_b32 s8, s8
	s_cbranch_execz .LBB3_4
; %bb.13:                               ;   in Loop: Header=BB3_6 Depth=1
	global_load_b128 v[18:21], v[16:17], off
	s_wait_loadcnt 0x0
	v_fmac_f64_e32 v[4:5], v[0:1], v[18:19]
	v_fmac_f64_e32 v[6:7], v[2:3], v[18:19]
	s_delay_alu instid0(VALU_DEP_2) | instskip(NEXT) | instid1(VALU_DEP_2)
	v_fma_f64 v[4:5], -v[2:3], v[20:21], v[4:5]
	v_fmac_f64_e32 v[6:7], v[0:1], v[20:21]
	global_store_b128 v[16:17], v[4:7], off
	s_branch .LBB3_4
.LBB3_14:
	s_endpgm
	.section	.rodata,"a",@progbits
	.p2align	6, 0x0
	.amdhsa_kernel _ZN9rocsparseL13gemmit_kernelILj256E21rocsparse_complex_numIdEEEviiNS_24const_host_device_scalarIT0_EEPKS4_iPKiS9_S7_S5_PS4_i21rocsparse_index_base_b
		.amdhsa_group_segment_fixed_size 0
		.amdhsa_private_segment_fixed_size 16
		.amdhsa_kernarg_size 100
		.amdhsa_user_sgpr_count 2
		.amdhsa_user_sgpr_dispatch_ptr 0
		.amdhsa_user_sgpr_queue_ptr 0
		.amdhsa_user_sgpr_kernarg_segment_ptr 1
		.amdhsa_user_sgpr_dispatch_id 0
		.amdhsa_user_sgpr_kernarg_preload_length 0
		.amdhsa_user_sgpr_kernarg_preload_offset 0
		.amdhsa_user_sgpr_private_segment_size 0
		.amdhsa_wavefront_size32 1
		.amdhsa_uses_dynamic_stack 0
		.amdhsa_enable_private_segment 1
		.amdhsa_system_sgpr_workgroup_id_x 1
		.amdhsa_system_sgpr_workgroup_id_y 1
		.amdhsa_system_sgpr_workgroup_id_z 0
		.amdhsa_system_sgpr_workgroup_info 0
		.amdhsa_system_vgpr_workitem_id 0
		.amdhsa_next_free_vgpr 22
		.amdhsa_next_free_sgpr 30
		.amdhsa_named_barrier_count 0
		.amdhsa_reserve_vcc 1
		.amdhsa_float_round_mode_32 0
		.amdhsa_float_round_mode_16_64 0
		.amdhsa_float_denorm_mode_32 3
		.amdhsa_float_denorm_mode_16_64 3
		.amdhsa_fp16_overflow 0
		.amdhsa_memory_ordered 1
		.amdhsa_forward_progress 1
		.amdhsa_inst_pref_size 7
		.amdhsa_round_robin_scheduling 0
		.amdhsa_exception_fp_ieee_invalid_op 0
		.amdhsa_exception_fp_denorm_src 0
		.amdhsa_exception_fp_ieee_div_zero 0
		.amdhsa_exception_fp_ieee_overflow 0
		.amdhsa_exception_fp_ieee_underflow 0
		.amdhsa_exception_fp_ieee_inexact 0
		.amdhsa_exception_int_div_zero 0
	.end_amdhsa_kernel
	.section	.text._ZN9rocsparseL13gemmit_kernelILj256E21rocsparse_complex_numIdEEEviiNS_24const_host_device_scalarIT0_EEPKS4_iPKiS9_S7_S5_PS4_i21rocsparse_index_base_b,"axG",@progbits,_ZN9rocsparseL13gemmit_kernelILj256E21rocsparse_complex_numIdEEEviiNS_24const_host_device_scalarIT0_EEPKS4_iPKiS9_S7_S5_PS4_i21rocsparse_index_base_b,comdat
.Lfunc_end3:
	.size	_ZN9rocsparseL13gemmit_kernelILj256E21rocsparse_complex_numIdEEEviiNS_24const_host_device_scalarIT0_EEPKS4_iPKiS9_S7_S5_PS4_i21rocsparse_index_base_b, .Lfunc_end3-_ZN9rocsparseL13gemmit_kernelILj256E21rocsparse_complex_numIdEEEviiNS_24const_host_device_scalarIT0_EEPKS4_iPKiS9_S7_S5_PS4_i21rocsparse_index_base_b
                                        ; -- End function
	.set _ZN9rocsparseL13gemmit_kernelILj256E21rocsparse_complex_numIdEEEviiNS_24const_host_device_scalarIT0_EEPKS4_iPKiS9_S7_S5_PS4_i21rocsparse_index_base_b.num_vgpr, 22
	.set _ZN9rocsparseL13gemmit_kernelILj256E21rocsparse_complex_numIdEEEviiNS_24const_host_device_scalarIT0_EEPKS4_iPKiS9_S7_S5_PS4_i21rocsparse_index_base_b.num_agpr, 0
	.set _ZN9rocsparseL13gemmit_kernelILj256E21rocsparse_complex_numIdEEEviiNS_24const_host_device_scalarIT0_EEPKS4_iPKiS9_S7_S5_PS4_i21rocsparse_index_base_b.numbered_sgpr, 30
	.set _ZN9rocsparseL13gemmit_kernelILj256E21rocsparse_complex_numIdEEEviiNS_24const_host_device_scalarIT0_EEPKS4_iPKiS9_S7_S5_PS4_i21rocsparse_index_base_b.num_named_barrier, 0
	.set _ZN9rocsparseL13gemmit_kernelILj256E21rocsparse_complex_numIdEEEviiNS_24const_host_device_scalarIT0_EEPKS4_iPKiS9_S7_S5_PS4_i21rocsparse_index_base_b.private_seg_size, 16
	.set _ZN9rocsparseL13gemmit_kernelILj256E21rocsparse_complex_numIdEEEviiNS_24const_host_device_scalarIT0_EEPKS4_iPKiS9_S7_S5_PS4_i21rocsparse_index_base_b.uses_vcc, 1
	.set _ZN9rocsparseL13gemmit_kernelILj256E21rocsparse_complex_numIdEEEviiNS_24const_host_device_scalarIT0_EEPKS4_iPKiS9_S7_S5_PS4_i21rocsparse_index_base_b.uses_flat_scratch, 0
	.set _ZN9rocsparseL13gemmit_kernelILj256E21rocsparse_complex_numIdEEEviiNS_24const_host_device_scalarIT0_EEPKS4_iPKiS9_S7_S5_PS4_i21rocsparse_index_base_b.has_dyn_sized_stack, 0
	.set _ZN9rocsparseL13gemmit_kernelILj256E21rocsparse_complex_numIdEEEviiNS_24const_host_device_scalarIT0_EEPKS4_iPKiS9_S7_S5_PS4_i21rocsparse_index_base_b.has_recursion, 0
	.set _ZN9rocsparseL13gemmit_kernelILj256E21rocsparse_complex_numIdEEEviiNS_24const_host_device_scalarIT0_EEPKS4_iPKiS9_S7_S5_PS4_i21rocsparse_index_base_b.has_indirect_call, 0
	.section	.AMDGPU.csdata,"",@progbits
; Kernel info:
; codeLenInByte = 784
; TotalNumSgprs: 32
; NumVgprs: 22
; ScratchSize: 16
; MemoryBound: 0
; FloatMode: 240
; IeeeMode: 1
; LDSByteSize: 0 bytes/workgroup (compile time only)
; SGPRBlocks: 0
; VGPRBlocks: 1
; NumSGPRsForWavesPerEU: 32
; NumVGPRsForWavesPerEU: 22
; NamedBarCnt: 0
; Occupancy: 16
; WaveLimiterHint : 1
; COMPUTE_PGM_RSRC2:SCRATCH_EN: 1
; COMPUTE_PGM_RSRC2:USER_SGPR: 2
; COMPUTE_PGM_RSRC2:TRAP_HANDLER: 0
; COMPUTE_PGM_RSRC2:TGID_X_EN: 1
; COMPUTE_PGM_RSRC2:TGID_Y_EN: 1
; COMPUTE_PGM_RSRC2:TGID_Z_EN: 0
; COMPUTE_PGM_RSRC2:TIDIG_COMP_CNT: 0
	.section	.AMDGPU.gpr_maximums,"",@progbits
	.set amdgpu.max_num_vgpr, 0
	.set amdgpu.max_num_agpr, 0
	.set amdgpu.max_num_sgpr, 0
	.section	.AMDGPU.csdata,"",@progbits
	.type	__hip_cuid_4ee873d062e69f31,@object ; @__hip_cuid_4ee873d062e69f31
	.section	.bss,"aw",@nobits
	.globl	__hip_cuid_4ee873d062e69f31
__hip_cuid_4ee873d062e69f31:
	.byte	0                               ; 0x0
	.size	__hip_cuid_4ee873d062e69f31, 1

	.ident	"AMD clang version 22.0.0git (https://github.com/RadeonOpenCompute/llvm-project roc-7.2.4 26084 f58b06dce1f9c15707c5f808fd002e18c2accf7e)"
	.section	".note.GNU-stack","",@progbits
	.addrsig
	.addrsig_sym __hip_cuid_4ee873d062e69f31
	.amdgpu_metadata
---
amdhsa.kernels:
  - .args:
      - .offset:         0
        .size:           4
        .value_kind:     by_value
      - .offset:         4
        .size:           4
        .value_kind:     by_value
      - .offset:         8
        .size:           8
        .value_kind:     by_value
      - .actual_access:  read_only
        .address_space:  global
        .offset:         16
        .size:           8
        .value_kind:     global_buffer
      - .offset:         24
        .size:           4
        .value_kind:     by_value
      - .actual_access:  read_only
        .address_space:  global
        .offset:         32
        .size:           8
        .value_kind:     global_buffer
      - .actual_access:  read_only
        .address_space:  global
        .offset:         40
        .size:           8
        .value_kind:     global_buffer
      - .actual_access:  read_only
        .address_space:  global
        .offset:         48
        .size:           8
        .value_kind:     global_buffer
      - .offset:         56
        .size:           8
        .value_kind:     by_value
      - .address_space:  global
        .offset:         64
        .size:           8
        .value_kind:     global_buffer
      - .offset:         72
        .size:           4
        .value_kind:     by_value
      - .offset:         76
        .size:           4
        .value_kind:     by_value
      - .offset:         80
        .size:           1
        .value_kind:     by_value
    .group_segment_fixed_size: 0
    .kernarg_segment_align: 8
    .kernarg_segment_size: 84
    .language:       OpenCL C
    .language_version:
      - 2
      - 0
    .max_flat_workgroup_size: 256
    .name:           _ZN9rocsparseL13gemmit_kernelILj256EfEEviiNS_24const_host_device_scalarIT0_EEPKS2_iPKiS7_S5_S3_PS2_i21rocsparse_index_base_b
    .private_segment_fixed_size: 0
    .sgpr_count:     30
    .sgpr_spill_count: 0
    .symbol:         _ZN9rocsparseL13gemmit_kernelILj256EfEEviiNS_24const_host_device_scalarIT0_EEPKS2_iPKiS7_S5_S3_PS2_i21rocsparse_index_base_b.kd
    .uniform_work_group_size: 1
    .uses_dynamic_stack: false
    .vgpr_count:     8
    .vgpr_spill_count: 0
    .wavefront_size: 32
  - .args:
      - .offset:         0
        .size:           4
        .value_kind:     by_value
      - .offset:         4
        .size:           4
        .value_kind:     by_value
      - .offset:         8
        .size:           8
        .value_kind:     by_value
      - .actual_access:  read_only
        .address_space:  global
        .offset:         16
        .size:           8
        .value_kind:     global_buffer
      - .offset:         24
        .size:           4
        .value_kind:     by_value
      - .actual_access:  read_only
        .address_space:  global
        .offset:         32
        .size:           8
        .value_kind:     global_buffer
      - .actual_access:  read_only
        .address_space:  global
        .offset:         40
        .size:           8
        .value_kind:     global_buffer
      - .actual_access:  read_only
        .address_space:  global
        .offset:         48
        .size:           8
        .value_kind:     global_buffer
      - .offset:         56
        .size:           8
        .value_kind:     by_value
      - .address_space:  global
        .offset:         64
        .size:           8
        .value_kind:     global_buffer
      - .offset:         72
        .size:           4
        .value_kind:     by_value
      - .offset:         76
        .size:           4
        .value_kind:     by_value
      - .offset:         80
        .size:           1
        .value_kind:     by_value
    .group_segment_fixed_size: 0
    .kernarg_segment_align: 8
    .kernarg_segment_size: 84
    .language:       OpenCL C
    .language_version:
      - 2
      - 0
    .max_flat_workgroup_size: 256
    .name:           _ZN9rocsparseL13gemmit_kernelILj256EdEEviiNS_24const_host_device_scalarIT0_EEPKS2_iPKiS7_S5_S3_PS2_i21rocsparse_index_base_b
    .private_segment_fixed_size: 0
    .sgpr_count:     28
    .sgpr_spill_count: 0
    .symbol:         _ZN9rocsparseL13gemmit_kernelILj256EdEEviiNS_24const_host_device_scalarIT0_EEPKS2_iPKiS7_S5_S3_PS2_i21rocsparse_index_base_b.kd
    .uniform_work_group_size: 1
    .uses_dynamic_stack: false
    .vgpr_count:     14
    .vgpr_spill_count: 0
    .wavefront_size: 32
  - .args:
      - .offset:         0
        .size:           4
        .value_kind:     by_value
      - .offset:         4
        .size:           4
        .value_kind:     by_value
      - .offset:         8
        .size:           8
        .value_kind:     by_value
      - .actual_access:  read_only
        .address_space:  global
        .offset:         16
        .size:           8
        .value_kind:     global_buffer
      - .offset:         24
        .size:           4
        .value_kind:     by_value
      - .actual_access:  read_only
        .address_space:  global
        .offset:         32
        .size:           8
        .value_kind:     global_buffer
      - .actual_access:  read_only
        .address_space:  global
        .offset:         40
        .size:           8
        .value_kind:     global_buffer
      - .actual_access:  read_only
        .address_space:  global
        .offset:         48
        .size:           8
        .value_kind:     global_buffer
      - .offset:         56
        .size:           8
        .value_kind:     by_value
      - .address_space:  global
        .offset:         64
        .size:           8
        .value_kind:     global_buffer
      - .offset:         72
        .size:           4
        .value_kind:     by_value
      - .offset:         76
        .size:           4
        .value_kind:     by_value
      - .offset:         80
        .size:           1
        .value_kind:     by_value
    .group_segment_fixed_size: 0
    .kernarg_segment_align: 8
    .kernarg_segment_size: 84
    .language:       OpenCL C
    .language_version:
      - 2
      - 0
    .max_flat_workgroup_size: 256
    .name:           _ZN9rocsparseL13gemmit_kernelILj256E21rocsparse_complex_numIfEEEviiNS_24const_host_device_scalarIT0_EEPKS4_iPKiS9_S7_S5_PS4_i21rocsparse_index_base_b
    .private_segment_fixed_size: 0
    .sgpr_count:     40
    .sgpr_spill_count: 0
    .symbol:         _ZN9rocsparseL13gemmit_kernelILj256E21rocsparse_complex_numIfEEEviiNS_24const_host_device_scalarIT0_EEPKS4_iPKiS9_S7_S5_PS4_i21rocsparse_index_base_b.kd
    .uniform_work_group_size: 1
    .uses_dynamic_stack: false
    .vgpr_count:     16
    .vgpr_spill_count: 0
    .wavefront_size: 32
  - .args:
      - .offset:         0
        .size:           4
        .value_kind:     by_value
      - .offset:         4
        .size:           4
        .value_kind:     by_value
      - .offset:         8
        .size:           16
        .value_kind:     by_value
      - .actual_access:  read_only
        .address_space:  global
        .offset:         24
        .size:           8
        .value_kind:     global_buffer
      - .offset:         32
        .size:           4
        .value_kind:     by_value
      - .actual_access:  read_only
        .address_space:  global
        .offset:         40
        .size:           8
        .value_kind:     global_buffer
      - .actual_access:  read_only
        .address_space:  global
        .offset:         48
        .size:           8
        .value_kind:     global_buffer
      - .actual_access:  read_only
        .address_space:  global
        .offset:         56
        .size:           8
        .value_kind:     global_buffer
      - .offset:         64
        .size:           16
        .value_kind:     by_value
      - .address_space:  global
        .offset:         80
        .size:           8
        .value_kind:     global_buffer
      - .offset:         88
        .size:           4
        .value_kind:     by_value
      - .offset:         92
        .size:           4
        .value_kind:     by_value
      - .offset:         96
        .size:           1
        .value_kind:     by_value
    .group_segment_fixed_size: 0
    .kernarg_segment_align: 8
    .kernarg_segment_size: 100
    .language:       OpenCL C
    .language_version:
      - 2
      - 0
    .max_flat_workgroup_size: 256
    .name:           _ZN9rocsparseL13gemmit_kernelILj256E21rocsparse_complex_numIdEEEviiNS_24const_host_device_scalarIT0_EEPKS4_iPKiS9_S7_S5_PS4_i21rocsparse_index_base_b
    .private_segment_fixed_size: 16
    .sgpr_count:     32
    .sgpr_spill_count: 0
    .symbol:         _ZN9rocsparseL13gemmit_kernelILj256E21rocsparse_complex_numIdEEEviiNS_24const_host_device_scalarIT0_EEPKS4_iPKiS9_S7_S5_PS4_i21rocsparse_index_base_b.kd
    .uniform_work_group_size: 1
    .uses_dynamic_stack: false
    .vgpr_count:     22
    .vgpr_spill_count: 0
    .wavefront_size: 32
amdhsa.target:   amdgcn-amd-amdhsa--gfx1250
amdhsa.version:
  - 1
  - 2
...

	.end_amdgpu_metadata
